;; amdgpu-corpus repo=ROCm/rocFFT kind=compiled arch=gfx1030 opt=O3
	.text
	.amdgcn_target "amdgcn-amd-amdhsa--gfx1030"
	.amdhsa_code_object_version 6
	.protected	fft_rtc_back_len3888_factors_16_3_3_3_3_3_wgs_324_tpt_324_halfLds_half_op_CI_CI_unitstride_sbrr_dirReg ; -- Begin function fft_rtc_back_len3888_factors_16_3_3_3_3_3_wgs_324_tpt_324_halfLds_half_op_CI_CI_unitstride_sbrr_dirReg
	.globl	fft_rtc_back_len3888_factors_16_3_3_3_3_3_wgs_324_tpt_324_halfLds_half_op_CI_CI_unitstride_sbrr_dirReg
	.p2align	8
	.type	fft_rtc_back_len3888_factors_16_3_3_3_3_3_wgs_324_tpt_324_halfLds_half_op_CI_CI_unitstride_sbrr_dirReg,@function
fft_rtc_back_len3888_factors_16_3_3_3_3_3_wgs_324_tpt_324_halfLds_half_op_CI_CI_unitstride_sbrr_dirReg: ; @fft_rtc_back_len3888_factors_16_3_3_3_3_3_wgs_324_tpt_324_halfLds_half_op_CI_CI_unitstride_sbrr_dirReg
; %bb.0:
	s_clause 0x2
	s_load_dwordx4 s[12:15], s[4:5], 0x0
	s_load_dwordx4 s[8:11], s[4:5], 0x58
	;; [unrolled: 1-line block ×3, first 2 shown]
	v_mul_u32_u24_e32 v1, 0x195, v0
	v_mov_b32_e32 v5, 0
	v_mov_b32_e32 v7, 0
	;; [unrolled: 1-line block ×3, first 2 shown]
	v_lshrrev_b32_e32 v1, 17, v1
	v_mov_b32_e32 v10, v5
	v_add_nc_u32_e32 v9, s6, v1
	s_waitcnt lgkmcnt(0)
	v_cmp_lt_u64_e64 s0, s[14:15], 2
	s_and_b32 vcc_lo, exec_lo, s0
	s_cbranch_vccnz .LBB0_8
; %bb.1:
	s_load_dwordx2 s[0:1], s[4:5], 0x10
	v_mov_b32_e32 v7, 0
	v_mov_b32_e32 v8, 0
	s_add_u32 s2, s18, 8
	s_addc_u32 s3, s19, 0
	v_mov_b32_e32 v1, v7
	s_add_u32 s6, s16, 8
	v_mov_b32_e32 v2, v8
	s_addc_u32 s7, s17, 0
	s_mov_b64 s[22:23], 1
	s_waitcnt lgkmcnt(0)
	s_add_u32 s20, s0, 8
	s_addc_u32 s21, s1, 0
.LBB0_2:                                ; =>This Inner Loop Header: Depth=1
	s_load_dwordx2 s[24:25], s[20:21], 0x0
                                        ; implicit-def: $vgpr3_vgpr4
	s_mov_b32 s0, exec_lo
	s_waitcnt lgkmcnt(0)
	v_or_b32_e32 v6, s25, v10
	v_cmpx_ne_u64_e32 0, v[5:6]
	s_xor_b32 s1, exec_lo, s0
	s_cbranch_execz .LBB0_4
; %bb.3:                                ;   in Loop: Header=BB0_2 Depth=1
	v_cvt_f32_u32_e32 v3, s24
	v_cvt_f32_u32_e32 v4, s25
	s_sub_u32 s0, 0, s24
	s_subb_u32 s26, 0, s25
	v_fmac_f32_e32 v3, 0x4f800000, v4
	v_rcp_f32_e32 v3, v3
	v_mul_f32_e32 v3, 0x5f7ffffc, v3
	v_mul_f32_e32 v4, 0x2f800000, v3
	v_trunc_f32_e32 v4, v4
	v_fmac_f32_e32 v3, 0xcf800000, v4
	v_cvt_u32_f32_e32 v4, v4
	v_cvt_u32_f32_e32 v3, v3
	v_mul_lo_u32 v6, s0, v4
	v_mul_hi_u32 v11, s0, v3
	v_mul_lo_u32 v12, s26, v3
	v_add_nc_u32_e32 v6, v11, v6
	v_mul_lo_u32 v11, s0, v3
	v_add_nc_u32_e32 v6, v6, v12
	v_mul_hi_u32 v12, v3, v11
	v_mul_lo_u32 v13, v3, v6
	v_mul_hi_u32 v14, v3, v6
	v_mul_hi_u32 v15, v4, v11
	v_mul_lo_u32 v11, v4, v11
	v_mul_hi_u32 v16, v4, v6
	v_mul_lo_u32 v6, v4, v6
	v_add_co_u32 v12, vcc_lo, v12, v13
	v_add_co_ci_u32_e32 v13, vcc_lo, 0, v14, vcc_lo
	v_add_co_u32 v11, vcc_lo, v12, v11
	v_add_co_ci_u32_e32 v11, vcc_lo, v13, v15, vcc_lo
	v_add_co_ci_u32_e32 v12, vcc_lo, 0, v16, vcc_lo
	v_add_co_u32 v6, vcc_lo, v11, v6
	v_add_co_ci_u32_e32 v11, vcc_lo, 0, v12, vcc_lo
	v_add_co_u32 v3, vcc_lo, v3, v6
	v_add_co_ci_u32_e32 v4, vcc_lo, v4, v11, vcc_lo
	v_mul_hi_u32 v6, s0, v3
	v_mul_lo_u32 v12, s26, v3
	v_mul_lo_u32 v11, s0, v4
	v_add_nc_u32_e32 v6, v6, v11
	v_mul_lo_u32 v11, s0, v3
	v_add_nc_u32_e32 v6, v6, v12
	v_mul_hi_u32 v12, v3, v11
	v_mul_lo_u32 v13, v3, v6
	v_mul_hi_u32 v14, v3, v6
	v_mul_hi_u32 v15, v4, v11
	v_mul_lo_u32 v11, v4, v11
	v_mul_hi_u32 v16, v4, v6
	v_mul_lo_u32 v6, v4, v6
	v_add_co_u32 v12, vcc_lo, v12, v13
	v_add_co_ci_u32_e32 v13, vcc_lo, 0, v14, vcc_lo
	v_add_co_u32 v11, vcc_lo, v12, v11
	v_add_co_ci_u32_e32 v11, vcc_lo, v13, v15, vcc_lo
	v_add_co_ci_u32_e32 v12, vcc_lo, 0, v16, vcc_lo
	v_add_co_u32 v6, vcc_lo, v11, v6
	v_add_co_ci_u32_e32 v11, vcc_lo, 0, v12, vcc_lo
	v_add_co_u32 v6, vcc_lo, v3, v6
	v_add_co_ci_u32_e32 v13, vcc_lo, v4, v11, vcc_lo
	v_mul_hi_u32 v15, v9, v6
	v_mad_u64_u32 v[11:12], null, v10, v6, 0
	v_mad_u64_u32 v[3:4], null, v9, v13, 0
	v_mad_u64_u32 v[13:14], null, v10, v13, 0
	v_add_co_u32 v3, vcc_lo, v15, v3
	v_add_co_ci_u32_e32 v4, vcc_lo, 0, v4, vcc_lo
	v_add_co_u32 v3, vcc_lo, v3, v11
	v_add_co_ci_u32_e32 v3, vcc_lo, v4, v12, vcc_lo
	v_add_co_ci_u32_e32 v4, vcc_lo, 0, v14, vcc_lo
	v_add_co_u32 v6, vcc_lo, v3, v13
	v_add_co_ci_u32_e32 v11, vcc_lo, 0, v4, vcc_lo
	v_mul_lo_u32 v12, s25, v6
	v_mad_u64_u32 v[3:4], null, s24, v6, 0
	v_mul_lo_u32 v13, s24, v11
	v_sub_co_u32 v3, vcc_lo, v9, v3
	v_add3_u32 v4, v4, v13, v12
	v_sub_nc_u32_e32 v12, v10, v4
	v_subrev_co_ci_u32_e64 v12, s0, s25, v12, vcc_lo
	v_add_co_u32 v13, s0, v6, 2
	v_add_co_ci_u32_e64 v14, s0, 0, v11, s0
	v_sub_co_u32 v15, s0, v3, s24
	v_sub_co_ci_u32_e32 v4, vcc_lo, v10, v4, vcc_lo
	v_subrev_co_ci_u32_e64 v12, s0, 0, v12, s0
	v_cmp_le_u32_e32 vcc_lo, s24, v15
	v_cmp_eq_u32_e64 s0, s25, v4
	v_cndmask_b32_e64 v15, 0, -1, vcc_lo
	v_cmp_le_u32_e32 vcc_lo, s25, v12
	v_cndmask_b32_e64 v16, 0, -1, vcc_lo
	v_cmp_le_u32_e32 vcc_lo, s24, v3
	;; [unrolled: 2-line block ×3, first 2 shown]
	v_cndmask_b32_e64 v17, 0, -1, vcc_lo
	v_cmp_eq_u32_e32 vcc_lo, s25, v12
	v_cndmask_b32_e64 v3, v17, v3, s0
	v_cndmask_b32_e32 v12, v16, v15, vcc_lo
	v_add_co_u32 v15, vcc_lo, v6, 1
	v_add_co_ci_u32_e32 v16, vcc_lo, 0, v11, vcc_lo
	v_cmp_ne_u32_e32 vcc_lo, 0, v12
	v_cndmask_b32_e32 v4, v16, v14, vcc_lo
	v_cndmask_b32_e32 v12, v15, v13, vcc_lo
	v_cmp_ne_u32_e32 vcc_lo, 0, v3
	v_cndmask_b32_e32 v4, v11, v4, vcc_lo
	v_cndmask_b32_e32 v3, v6, v12, vcc_lo
.LBB0_4:                                ;   in Loop: Header=BB0_2 Depth=1
	s_andn2_saveexec_b32 s0, s1
	s_cbranch_execz .LBB0_6
; %bb.5:                                ;   in Loop: Header=BB0_2 Depth=1
	v_cvt_f32_u32_e32 v3, s24
	s_sub_i32 s1, 0, s24
	v_rcp_iflag_f32_e32 v3, v3
	v_mul_f32_e32 v3, 0x4f7ffffe, v3
	v_cvt_u32_f32_e32 v3, v3
	v_mul_lo_u32 v4, s1, v3
	v_mul_hi_u32 v4, v3, v4
	v_add_nc_u32_e32 v3, v3, v4
	v_mul_hi_u32 v3, v9, v3
	v_mul_lo_u32 v4, v3, s24
	v_add_nc_u32_e32 v6, 1, v3
	v_sub_nc_u32_e32 v4, v9, v4
	v_subrev_nc_u32_e32 v11, s24, v4
	v_cmp_le_u32_e32 vcc_lo, s24, v4
	v_cndmask_b32_e32 v4, v4, v11, vcc_lo
	v_cndmask_b32_e32 v3, v3, v6, vcc_lo
	v_cmp_le_u32_e32 vcc_lo, s24, v4
	v_add_nc_u32_e32 v6, 1, v3
	v_mov_b32_e32 v4, v5
	v_cndmask_b32_e32 v3, v3, v6, vcc_lo
.LBB0_6:                                ;   in Loop: Header=BB0_2 Depth=1
	s_or_b32 exec_lo, exec_lo, s0
	v_mul_lo_u32 v6, v4, s24
	v_mul_lo_u32 v13, v3, s25
	s_load_dwordx2 s[0:1], s[6:7], 0x0
	v_mad_u64_u32 v[11:12], null, v3, s24, 0
	s_load_dwordx2 s[24:25], s[2:3], 0x0
	s_add_u32 s22, s22, 1
	s_addc_u32 s23, s23, 0
	s_add_u32 s2, s2, 8
	s_addc_u32 s3, s3, 0
	s_add_u32 s6, s6, 8
	v_add3_u32 v6, v12, v13, v6
	v_sub_co_u32 v9, vcc_lo, v9, v11
	s_addc_u32 s7, s7, 0
	s_add_u32 s20, s20, 8
	v_sub_co_ci_u32_e32 v6, vcc_lo, v10, v6, vcc_lo
	s_addc_u32 s21, s21, 0
	s_waitcnt lgkmcnt(0)
	v_mul_lo_u32 v10, s0, v6
	v_mul_lo_u32 v11, s1, v9
	v_mad_u64_u32 v[7:8], null, s0, v9, v[7:8]
	v_mul_lo_u32 v6, s24, v6
	v_mul_lo_u32 v12, s25, v9
	v_mad_u64_u32 v[1:2], null, s24, v9, v[1:2]
	v_cmp_ge_u64_e64 s0, s[22:23], s[14:15]
	v_add3_u32 v8, v11, v8, v10
	v_add3_u32 v2, v12, v2, v6
	s_and_b32 vcc_lo, exec_lo, s0
	s_cbranch_vccnz .LBB0_9
; %bb.7:                                ;   in Loop: Header=BB0_2 Depth=1
	v_mov_b32_e32 v10, v4
	v_mov_b32_e32 v9, v3
	s_branch .LBB0_2
.LBB0_8:
	v_mov_b32_e32 v1, v7
	v_mov_b32_e32 v3, v9
	;; [unrolled: 1-line block ×4, first 2 shown]
.LBB0_9:
	s_load_dwordx2 s[2:3], s[4:5], 0x28
	v_mul_hi_u32_u24_e32 v5, 0xca4588, v0
	s_lshl_b64 s[4:5], s[14:15], 3
	v_mov_b32_e32 v10, 0
	v_mov_b32_e32 v6, 0
	;; [unrolled: 1-line block ×3, first 2 shown]
	v_mul_u32_u24_e32 v5, 0x144, v5
	v_mov_b32_e32 v15, 0
	v_mov_b32_e32 v25, 0
	;; [unrolled: 1-line block ×4, first 2 shown]
	v_sub_nc_u32_e32 v5, v0, v5
	v_mov_b32_e32 v14, 0
	v_mov_b32_e32 v11, 0
	;; [unrolled: 1-line block ×4, first 2 shown]
	v_cmp_gt_u32_e64 s0, 0xf3, v5
	v_mov_b32_e32 v18, 0
	v_mov_b32_e32 v27, 0
	;; [unrolled: 1-line block ×3, first 2 shown]
	s_waitcnt lgkmcnt(0)
	v_cmp_gt_u64_e32 vcc_lo, s[2:3], v[3:4]
	v_mov_b32_e32 v24, 0
	v_mov_b32_e32 v16, 0
	s_add_u32 s2, s18, s4
	s_addc_u32 s3, s19, s5
                                        ; implicit-def: $vgpr12
                                        ; implicit-def: $vgpr9
                                        ; implicit-def: $vgpr32
                                        ; implicit-def: $vgpr28
                                        ; implicit-def: $vgpr36
                                        ; implicit-def: $vgpr22
                                        ; implicit-def: $vgpr31
                                        ; implicit-def: $vgpr26
                                        ; implicit-def: $vgpr37
                                        ; implicit-def: $vgpr23
                                        ; implicit-def: $vgpr34
                                        ; implicit-def: $vgpr30
                                        ; implicit-def: $vgpr38
                                        ; implicit-def: $vgpr35
                                        ; implicit-def: $vgpr33
                                        ; implicit-def: $vgpr29
	s_and_b32 s1, vcc_lo, s0
	s_and_saveexec_b32 s6, s1
	s_cbranch_execz .LBB0_11
; %bb.10:
	s_add_u32 s4, s16, s4
	s_addc_u32 s5, s17, s5
	v_lshlrev_b64 v[7:8], 2, v[7:8]
	s_load_dwordx2 s[4:5], s[4:5], 0x0
	s_waitcnt lgkmcnt(0)
	v_mul_lo_u32 v0, s5, v3
	v_mul_lo_u32 v6, s4, v4
	v_mad_u64_u32 v[9:10], null, s4, v3, 0
	v_add3_u32 v10, v10, v6, v0
	v_mov_b32_e32 v6, 0
	v_lshlrev_b64 v[9:10], 2, v[9:10]
	v_add_co_u32 v0, s1, s8, v9
	v_add_co_ci_u32_e64 v11, s1, s9, v10, s1
	v_lshlrev_b64 v[9:10], 2, v[5:6]
	v_add_co_u32 v0, s1, v0, v7
	v_add_co_ci_u32_e64 v6, s1, v11, v8, s1
	v_add_co_u32 v7, s1, v0, v9
	v_add_co_ci_u32_e64 v8, s1, v6, v10, s1
	;; [unrolled: 2-line block ×9, first 2 shown]
	s_clause 0xf
	global_load_dword v6, v[7:8], off
	global_load_dword v15, v[7:8], off offset:972
	global_load_dword v13, v[7:8], off offset:1944
	;; [unrolled: 1-line block ×15, first 2 shown]
	s_waitcnt vmcnt(15)
	v_lshrrev_b32_e32 v10, 16, v6
	s_waitcnt vmcnt(14)
	v_lshrrev_b32_e32 v19, 16, v15
	;; [unrolled: 2-line block ×16, first 2 shown]
.LBB0_11:
	s_or_b32 exec_lo, exec_lo, s6
	v_sub_f16_e32 v8, v13, v22
	v_sub_f16_e32 v36, v25, v36
	;; [unrolled: 1-line block ×10, first 2 shown]
	v_fma_f16 v7, v13, 2.0, -v8
	v_fma_f16 v13, v25, 2.0, -v36
	;; [unrolled: 1-line block ×7, first 2 shown]
	v_sub_f16_e32 v26, v14, v26
	v_sub_f16_e32 v29, v16, v29
	;; [unrolled: 1-line block ×3, first 2 shown]
	v_fma_f16 v20, v20, 2.0, -v30
	v_sub_f16_e32 v31, v17, v31
	v_fma_f16 v14, v14, 2.0, -v26
	v_fma_f16 v16, v16, 2.0, -v29
	v_fma_f16 v24, v24, 2.0, -v33
	v_sub_f16_e32 v25, v7, v21
	v_add_f16_e32 v21, v8, v37
	v_sub_f16_e32 v28, v13, v27
	v_sub_f16_e32 v27, v36, v35
	;; [unrolled: 1-line block ×4, first 2 shown]
	v_add_f16_e32 v35, v38, v30
	v_add_f16_e32 v33, v26, v33
	v_fma_f16 v17, v17, 2.0, -v31
	v_fma_f16 v34, v8, 2.0, -v21
	v_fma_f16 v8, v15, 2.0, -v18
	v_fma_f16 v30, v19, 2.0, -v20
	v_sub_f16_e32 v15, v32, v39
	v_fma_f16 v19, v38, 2.0, -v35
	v_sub_f16_e32 v16, v14, v16
	v_sub_f16_e32 v41, v31, v29
	v_fma_f16 v29, v26, 2.0, -v33
	v_sub_f16_e32 v38, v17, v24
	v_fma_f16 v32, v32, 2.0, -v15
	v_fma_f16 v14, v14, 2.0, -v16
	;; [unrolled: 1-line block ×3, first 2 shown]
	v_fmamk_f16 v24, v29, 0xb9a8, v19
	v_fma_f16 v37, v36, 2.0, -v27
	v_fma_f16 v17, v17, 2.0, -v38
	v_mul_f16_e32 v36, 0x39a8, v34
	v_fmamk_f16 v26, v31, 0xb9a8, v32
	v_mul_f16_e32 v44, 0x39a8, v27
	v_sub_f16_e32 v27, v8, v14
	v_fmac_f16_e32 v24, 0x39a8, v31
	v_fmamk_f16 v31, v33, 0x39a8, v35
	v_fmamk_f16 v34, v41, 0x39a8, v15
	v_add_f16_e32 v14, v18, v38
	v_sub_f16_e32 v16, v20, v16
	v_sub_f16_e32 v42, v30, v17
	v_fmac_f16_e32 v26, 0xb9a8, v29
	v_fmac_f16_e32 v31, 0x39a8, v41
	;; [unrolled: 1-line block ×3, first 2 shown]
	v_fma_f16 v17, v18, 2.0, -v14
	v_fma_f16 v18, v20, 2.0, -v16
	v_mul_f16_e32 v40, 0x39a8, v37
	v_mul_f16_e32 v39, 0x39a8, v21
	v_fma_f16 v29, v19, 2.0, -v24
	v_fma_f16 v33, v32, 2.0, -v26
	;; [unrolled: 1-line block ×4, first 2 shown]
	v_mul_f16_e32 v35, 0x39a8, v17
	v_mul_f16_e32 v41, 0x39a8, v18
	;; [unrolled: 1-line block ×4, first 2 shown]
	s_and_saveexec_b32 s1, s0
	s_cbranch_execz .LBB0_13
; %bb.12:
	v_sub_f16_e32 v9, v6, v9
	v_fma_f16 v0, v0, 2.0, -v22
	v_fma_f16 v7, v7, 2.0, -v25
	;; [unrolled: 1-line block ×3, first 2 shown]
	v_lshl_add_u32 v48, v5, 5, 0
	v_add_f16_e32 v14, v9, v23
	v_fma_f16 v6, v6, 2.0, -v9
	v_fma_f16 v9, v9, 2.0, -v14
	v_add_f16_e32 v15, v14, v39
	v_sub_f16_e32 v0, v6, v0
	v_sub_f16_e32 v16, v9, v36
	v_add_f16_e32 v15, v44, v15
	v_add_f16_e32 v17, v0, v28
	v_fma_f16 v6, v6, 2.0, -v0
	v_add_f16_e32 v16, v40, v16
	v_fma_f16 v14, v14, 2.0, -v15
	v_fma_f16 v0, v0, 2.0, -v17
	v_sub_f16_e32 v7, v6, v7
	v_fmamk_f16 v18, v31, 0x3b64, v15
	v_fma_f16 v9, v9, 2.0, -v16
	v_fmamk_f16 v20, v32, 0xb61f, v14
	v_sub_f16_e32 v45, v0, v35
	v_fma_f16 v6, v6, 2.0, -v7
	v_add_f16_e32 v19, v17, v38
	v_fmamk_f16 v47, v29, 0xbb64, v9
	v_fmamk_f16 v21, v24, 0x361f, v16
	v_fmac_f16_e32 v20, 0x3b64, v37
	v_add_f16_e32 v45, v41, v45
	v_sub_f16_e32 v8, v6, v8
	v_fmac_f16_e32 v47, 0x361f, v33
	v_fmac_f16_e32 v18, 0x361f, v34
	v_add_f16_e32 v19, v43, v19
	v_add_f16_e32 v46, v7, v42
	v_fmac_f16_e32 v21, 0x3b64, v26
	v_fma_f16 v14, v14, 2.0, -v20
	v_fma_f16 v0, v0, 2.0, -v45
	;; [unrolled: 1-line block ×8, first 2 shown]
	v_pack_b32_f16 v0, v0, v14
	v_pack_b32_f16 v6, v6, v9
	;; [unrolled: 1-line block ×8, first 2 shown]
	ds_write2_b32 v48, v6, v0 offset1:1
	ds_write2_b32 v48, v7, v15 offset0:2 offset1:3
	ds_write2_b32 v48, v8, v9 offset0:4 offset1:5
	;; [unrolled: 1-line block ×3, first 2 shown]
.LBB0_13:
	s_or_b32 exec_lo, exec_lo, s1
	v_lshl_add_u32 v0, v5, 1, 0
	s_waitcnt lgkmcnt(0)
	s_barrier
	buffer_gl0_inv
	ds_read_u16 v6, v0
	ds_read_u16 v7, v0 offset:648
	ds_read_u16 v8, v0 offset:1296
	;; [unrolled: 1-line block ×11, first 2 shown]
	s_waitcnt lgkmcnt(0)
	s_barrier
	buffer_gl0_inv
	s_and_saveexec_b32 s1, s0
	s_cbranch_execz .LBB0_15
; %bb.14:
	v_sub_f16_e32 v12, v10, v12
	v_fma_f16 v11, v11, 2.0, -v23
	v_fma_f16 v13, v13, 2.0, -v28
	;; [unrolled: 1-line block ×3, first 2 shown]
	v_sub_f16_e32 v22, v12, v22
	v_fma_f16 v10, v10, 2.0, -v12
	v_fma_f16 v12, v12, 2.0, -v22
	v_sub_f16_e32 v11, v10, v11
	v_add_f16_e32 v23, v22, v44
	v_sub_f16_e32 v28, v12, v40
	v_fma_f16 v10, v10, 2.0, -v11
	v_sub_f16_e32 v25, v11, v25
	v_sub_f16_e32 v23, v23, v39
	v_sub_f16_e32 v28, v28, v36
	v_sub_f16_e32 v13, v10, v13
	v_fma_f16 v11, v11, 2.0, -v25
	v_fma_f16 v22, v22, 2.0, -v23
	v_fmamk_f16 v34, v34, 0x3b64, v23
	v_fma_f16 v12, v12, 2.0, -v28
	v_fma_f16 v10, v10, 2.0, -v13
	v_sub_f16_e32 v39, v11, v41
	v_fmamk_f16 v37, v37, 0xb61f, v22
	v_fmac_f16_e32 v34, 0xb61f, v31
	v_fmamk_f16 v31, v33, 0xbb64, v12
	v_add_f16_e32 v36, v25, v43
	v_fmamk_f16 v26, v26, 0x361f, v28
	v_sub_f16_e32 v30, v10, v30
	v_sub_f16_e32 v33, v39, v35
	v_fmac_f16_e32 v37, 0xbb64, v32
	v_fmac_f16_e32 v31, 0xb61f, v29
	v_sub_f16_e32 v27, v13, v27
	v_sub_f16_e32 v36, v36, v38
	v_fmac_f16_e32 v26, 0xbb64, v24
	v_fma_f16 v10, v10, 2.0, -v30
	v_fma_f16 v11, v11, 2.0, -v33
	;; [unrolled: 1-line block ×8, first 2 shown]
	v_mad_u32_u24 v28, v5, 30, v0
	v_pack_b32_f16 v11, v11, v22
	v_pack_b32_f16 v10, v10, v12
	;; [unrolled: 1-line block ×8, first 2 shown]
	ds_write2_b32 v28, v10, v11 offset1:1
	ds_write2_b32 v28, v13, v23 offset0:2 offset1:3
	ds_write2_b32 v28, v12, v22 offset0:4 offset1:5
	;; [unrolled: 1-line block ×3, first 2 shown]
.LBB0_15:
	s_or_b32 exec_lo, exec_lo, s1
	v_add_nc_u32_e32 v12, 0x144, v5
	v_and_b32_e32 v30, 15, v5
	v_add_nc_u32_e32 v10, 0x288, v5
	s_load_dwordx2 s[2:3], s[2:3], 0x0
	s_waitcnt lgkmcnt(0)
	v_and_b32_e32 v31, 15, v12
	v_lshlrev_b32_e32 v11, 3, v30
	s_barrier
	buffer_gl0_inv
	v_and_b32_e32 v32, 15, v10
	v_lshlrev_b32_e32 v13, 3, v31
	global_load_dwordx2 v[22:23], v11, s[12:13]
	v_lshrrev_b32_e32 v42, 4, v5
	v_mov_b32_e32 v47, 0xaaab
	v_lshlrev_b32_e32 v26, 3, v32
	global_load_dwordx2 v[24:25], v13, s[12:13]
	v_add_nc_u32_e32 v11, 0x3cc, v5
	v_mul_u32_u24_e32 v42, 48, v42
	v_lshrrev_b32_e32 v48, 4, v12
	v_lshrrev_b32_e32 v49, 4, v10
	v_mul_u32_u24_sdwa v51, v5, v47 dst_sel:DWORD dst_unused:UNUSED_PAD src0_sel:WORD_0 src1_sel:DWORD
	v_and_b32_e32 v33, 15, v11
	v_lshrrev_b32_e32 v50, 4, v11
	v_mul_u32_u24_sdwa v52, v12, v47 dst_sel:DWORD dst_unused:UNUSED_PAD src0_sel:WORD_0 src1_sel:DWORD
	v_or_b32_e32 v30, v42, v30
	v_mul_u32_u24_e32 v42, 48, v48
	v_lshlrev_b32_e32 v13, 3, v33
	v_mul_u32_u24_sdwa v53, v10, v47 dst_sel:DWORD dst_unused:UNUSED_PAD src0_sel:WORD_0 src1_sel:DWORD
	v_mul_u32_u24_sdwa v47, v11, v47 dst_sel:DWORD dst_unused:UNUSED_PAD src0_sel:WORD_0 src1_sel:DWORD
	s_clause 0x1
	global_load_dwordx2 v[26:27], v26, s[12:13]
	global_load_dwordx2 v[28:29], v13, s[12:13]
	ds_read_u16 v34, v0
	ds_read_u16 v35, v0 offset:648
	ds_read_u16 v36, v0 offset:1296
	;; [unrolled: 1-line block ×11, first 2 shown]
	v_mul_u32_u24_e32 v48, 48, v49
	v_mul_u32_u24_e32 v49, 48, v50
	v_lshrrev_b32_e32 v50, 21, v51
	v_lshrrev_b32_e32 v51, 21, v52
	v_or_b32_e32 v31, v42, v31
	v_lshrrev_b32_e32 v52, 21, v53
	v_lshrrev_b32_e32 v47, 21, v47
	v_lshl_add_u32 v30, v30, 1, 0
	v_or_b32_e32 v32, v48, v32
	v_mul_lo_u16 v42, v50, 48
	v_or_b32_e32 v33, v49, v33
	v_mul_lo_u16 v48, v51, 48
	v_lshl_add_u32 v31, v31, 1, 0
	v_mov_b32_e32 v13, 3
	s_waitcnt vmcnt(0) lgkmcnt(0)
	s_barrier
	buffer_gl0_inv
	v_mul_lo_u16 v49, v52, 48
	v_sub_nc_u16 v42, v5, v42
	v_lshl_add_u32 v32, v32, 1, 0
	v_lshl_add_u32 v33, v33, 1, 0
	v_sub_nc_u16 v48, v12, v48
	v_sub_nc_u16 v49, v10, v49
	v_lshlrev_b32_sdwa v53, v13, v42 dst_sel:DWORD dst_unused:UNUSED_PAD src0_sel:DWORD src1_sel:WORD_0
	v_cmp_gt_u32_e64 s0, 0x6c, v5
	v_lshlrev_b32_sdwa v58, v13, v48 dst_sel:DWORD dst_unused:UNUSED_PAD src0_sel:DWORD src1_sel:WORD_0
	v_mul_f16_sdwa v54, v40, v22 dst_sel:DWORD dst_unused:UNUSED_PAD src0_sel:DWORD src1_sel:WORD_1
	v_mul_f16_sdwa v55, v20, v22 dst_sel:DWORD dst_unused:UNUSED_PAD src0_sel:DWORD src1_sel:WORD_1
	;; [unrolled: 1-line block ×4, first 2 shown]
	v_fmac_f16_e32 v54, v20, v22
	v_fma_f16 v20, v40, v22, -v55
	v_mul_f16_sdwa v22, v37, v24 dst_sel:DWORD dst_unused:UNUSED_PAD src0_sel:DWORD src1_sel:WORD_1
	v_fmac_f16_e32 v56, v21, v23
	v_fma_f16 v21, v43, v23, -v57
	v_mul_f16_sdwa v23, v17, v24 dst_sel:DWORD dst_unused:UNUSED_PAD src0_sel:DWORD src1_sel:WORD_1
	v_mul_f16_sdwa v40, v44, v25 dst_sel:DWORD dst_unused:UNUSED_PAD src0_sel:DWORD src1_sel:WORD_1
	;; [unrolled: 1-line block ×3, first 2 shown]
	v_fmac_f16_e32 v22, v17, v24
	v_fma_f16 v23, v37, v24, -v23
	v_fmac_f16_e32 v40, v19, v25
	v_fma_f16 v19, v44, v25, -v43
	v_mul_f16_sdwa v55, v38, v26 dst_sel:DWORD dst_unused:UNUSED_PAD src0_sel:DWORD src1_sel:WORD_1
	v_mul_f16_sdwa v59, v45, v27 dst_sel:DWORD dst_unused:UNUSED_PAD src0_sel:DWORD src1_sel:WORD_1
	;; [unrolled: 1-line block ×8, first 2 shown]
	v_add_f16_e32 v25, v54, v56
	v_fmac_f16_e32 v55, v15, v26
	v_fmac_f16_e32 v59, v18, v27
	v_fma_f16 v18, v45, v27, -v60
	v_fmac_f16_e32 v61, v14, v28
	v_fmac_f16_e32 v17, v16, v29
	v_add_f16_e32 v27, v34, v20
	v_fma_f16 v15, v38, v26, -v57
	v_sub_f16_e32 v26, v20, v21
	v_add_f16_e32 v20, v20, v21
	v_fma_f16 v14, v39, v28, -v62
	v_fma_f16 v16, v46, v29, -v24
	v_add_f16_e32 v24, v6, v54
	v_fmac_f16_e32 v6, -0.5, v25
	v_add_f16_e32 v25, v22, v40
	v_add_f16_e32 v21, v27, v21
	v_sub_f16_e32 v27, v23, v19
	v_add_f16_e32 v29, v35, v23
	v_add_f16_e32 v23, v23, v19
	v_add_f16_e32 v38, v55, v59
	v_add_f16_e32 v46, v61, v17
	v_fmac_f16_e32 v34, -0.5, v20
	v_add_f16_e32 v20, v7, v22
	v_sub_f16_e32 v28, v54, v56
	v_add_f16_e32 v37, v8, v55
	v_sub_f16_e32 v44, v55, v59
	v_sub_f16_e32 v54, v14, v16
	v_add_f16_e32 v55, v41, v14
	v_add_f16_e32 v14, v14, v16
	v_fmac_f16_e32 v7, -0.5, v25
	v_add_f16_e32 v24, v24, v56
	v_sub_f16_e32 v22, v22, v40
	v_sub_f16_e32 v39, v15, v18
	v_add_f16_e32 v43, v36, v15
	v_add_f16_e32 v15, v15, v18
	;; [unrolled: 1-line block ×3, first 2 shown]
	v_fmamk_f16 v57, v26, 0xbaee, v6
	v_fmac_f16_e32 v35, -0.5, v23
	v_fmac_f16_e32 v8, -0.5, v38
	;; [unrolled: 1-line block ×3, first 2 shown]
	v_fmac_f16_e32 v6, 0x3aee, v26
	v_add_f16_e32 v20, v20, v40
	v_fmac_f16_e32 v41, -0.5, v14
	v_fmamk_f16 v14, v27, 0xbaee, v7
	v_fmac_f16_e32 v7, 0x3aee, v27
	v_sub_f16_e32 v56, v61, v17
	v_add_f16_e32 v23, v37, v59
	v_fmac_f16_e32 v36, -0.5, v15
	v_add_f16_e32 v15, v45, v17
	ds_write_b16 v30, v24
	v_fmamk_f16 v17, v22, 0x3aee, v35
	v_fmac_f16_e32 v35, 0xbaee, v22
	v_fmamk_f16 v22, v39, 0xbaee, v8
	v_fmac_f16_e32 v8, 0x3aee, v39
	;; [unrolled: 2-line block ×3, first 2 shown]
	ds_write_b16 v30, v57 offset:32
	ds_write_b16 v30, v6 offset:64
	ds_write_b16 v31, v20
	ds_write_b16 v31, v14 offset:32
	ds_write_b16 v31, v7 offset:64
	ds_write_b16 v32, v23
	;; [unrolled: 3-line block ×3, first 2 shown]
	ds_write_b16 v33, v25 offset:32
	ds_write_b16 v33, v9 offset:64
	v_mul_lo_u16 v14, v47, 48
	v_fmamk_f16 v26, v28, 0x3aee, v34
	v_fmac_f16_e32 v34, 0xbaee, v28
	v_add_f16_e32 v19, v29, v19
	v_add_f16_e32 v18, v43, v18
	;; [unrolled: 1-line block ×3, first 2 shown]
	v_fmamk_f16 v24, v44, 0x3aee, v36
	v_fmac_f16_e32 v36, 0xbaee, v44
	v_fmamk_f16 v27, v56, 0x3aee, v41
	v_fmac_f16_e32 v41, 0xbaee, v56
	s_waitcnt lgkmcnt(0)
	s_barrier
	buffer_gl0_inv
	ds_read_u16 v20, v0
	ds_read_u16 v22, v0 offset:648
	ds_read_u16 v23, v0 offset:1296
	;; [unrolled: 1-line block ×11, first 2 shown]
	s_waitcnt lgkmcnt(0)
	s_barrier
	buffer_gl0_inv
	ds_write_b16 v30, v21
	ds_write_b16 v30, v26 offset:32
	ds_write_b16 v30, v34 offset:64
	ds_write_b16 v31, v19
	ds_write_b16 v31, v17 offset:32
	ds_write_b16 v31, v35 offset:64
	;; [unrolled: 3-line block ×4, first 2 shown]
	v_sub_nc_u16 v19, v11, v14
	s_waitcnt lgkmcnt(0)
	s_barrier
	buffer_gl0_inv
	s_clause 0x1
	global_load_dwordx2 v[6:7], v53, s[12:13] offset:128
	global_load_dwordx2 v[8:9], v58, s[12:13] offset:128
	v_lshlrev_b32_sdwa v15, v13, v49 dst_sel:DWORD dst_unused:UNUSED_PAD src0_sel:DWORD src1_sel:WORD_0
	v_lshlrev_b32_sdwa v14, v13, v19 dst_sel:DWORD dst_unused:UNUSED_PAD src0_sel:DWORD src1_sel:WORD_0
	v_mul_u32_u24_e32 v31, 0x120, v51
	v_mul_u32_u24_e32 v35, 0x120, v52
	;; [unrolled: 1-line block ×3, first 2 shown]
	s_clause 0x1
	global_load_dwordx2 v[15:16], v15, s[12:13] offset:128
	global_load_dwordx2 v[17:18], v14, s[12:13] offset:128
	v_mov_b32_e32 v14, 0xe38f
	ds_read_u16 v47, v0 offset:2592
	v_mul_u32_u24_sdwa v21, v5, v14 dst_sel:DWORD dst_unused:UNUSED_PAD src0_sel:WORD_0 src1_sel:DWORD
	v_mul_u32_u24_sdwa v24, v12, v14 dst_sel:DWORD dst_unused:UNUSED_PAD src0_sel:WORD_0 src1_sel:DWORD
	;; [unrolled: 1-line block ×4, first 2 shown]
	v_mov_b32_e32 v14, 1
	v_lshrrev_b32_e32 v30, 23, v21
	v_mul_u32_u24_e32 v21, 0x120, v50
	v_lshrrev_b32_e32 v24, 23, v24
	v_lshrrev_b32_e32 v26, 23, v26
	v_lshlrev_b32_sdwa v41, v14, v42 dst_sel:DWORD dst_unused:UNUSED_PAD src0_sel:DWORD src1_sel:WORD_0
	v_lshlrev_b32_sdwa v42, v14, v48 dst_sel:DWORD dst_unused:UNUSED_PAD src0_sel:DWORD src1_sel:WORD_0
	;; [unrolled: 1-line block ×4, first 2 shown]
	ds_read_u16 v49, v0 offset:5184
	v_add3_u32 v21, 0, v21, v41
	v_add3_u32 v31, 0, v31, v42
	ds_read_u16 v42, v0 offset:5832
	ds_read_u16 v41, v0 offset:3240
	v_add3_u32 v35, 0, v35, v45
	v_add3_u32 v19, 0, v36, v19
	ds_read_u16 v36, v0 offset:3888
	ds_read_u16 v45, v0
	ds_read_u16 v50, v0 offset:648
	ds_read_u16 v51, v0 offset:1296
	;; [unrolled: 1-line block ×6, first 2 shown]
	v_lshrrev_b32_e32 v27, 23, v27
	v_mul_lo_u16 v32, 0x90, v30
	v_mul_lo_u16 v33, 0x90, v24
	;; [unrolled: 1-line block ×3, first 2 shown]
	s_waitcnt vmcnt(0) lgkmcnt(0)
	s_barrier
	v_sub_nc_u16 v32, v5, v32
	v_sub_nc_u16 v33, v12, v33
	buffer_gl0_inv
	v_sub_nc_u16 v34, v10, v34
	v_mul_u32_u24_e32 v30, 0x360, v30
	v_lshlrev_b32_sdwa v46, v13, v32 dst_sel:DWORD dst_unused:UNUSED_PAD src0_sel:DWORD src1_sel:WORD_0
	v_lshlrev_b32_sdwa v48, v13, v33 dst_sel:DWORD dst_unused:UNUSED_PAD src0_sel:DWORD src1_sel:WORD_0
	v_lshlrev_b32_sdwa v32, v14, v32 dst_sel:DWORD dst_unused:UNUSED_PAD src0_sel:DWORD src1_sel:WORD_0
	v_lshlrev_b32_sdwa v33, v14, v33 dst_sel:DWORD dst_unused:UNUSED_PAD src0_sel:DWORD src1_sel:WORD_0
	v_mul_u32_u24_e32 v26, 0x360, v26
	v_add3_u32 v30, 0, v30, v32
	v_mul_f16_sdwa v56, v47, v6 dst_sel:DWORD dst_unused:UNUSED_PAD src0_sel:DWORD src1_sel:WORD_1
	v_mul_f16_sdwa v57, v37, v6 dst_sel:DWORD dst_unused:UNUSED_PAD src0_sel:DWORD src1_sel:WORD_1
	v_mul_f16_sdwa v58, v49, v7 dst_sel:DWORD dst_unused:UNUSED_PAD src0_sel:DWORD src1_sel:WORD_1
	v_mul_f16_sdwa v59, v39, v7 dst_sel:DWORD dst_unused:UNUSED_PAD src0_sel:DWORD src1_sel:WORD_1
	v_mul_f16_sdwa v60, v41, v8 dst_sel:DWORD dst_unused:UNUSED_PAD src0_sel:DWORD src1_sel:WORD_1
	v_mul_f16_sdwa v61, v25, v8 dst_sel:DWORD dst_unused:UNUSED_PAD src0_sel:DWORD src1_sel:WORD_1
	v_mul_f16_sdwa v62, v42, v9 dst_sel:DWORD dst_unused:UNUSED_PAD src0_sel:DWORD src1_sel:WORD_1
	v_fmac_f16_e32 v56, v37, v6
	v_fma_f16 v6, v47, v6, -v57
	v_mul_f16_sdwa v47, v36, v15 dst_sel:DWORD dst_unused:UNUSED_PAD src0_sel:DWORD src1_sel:WORD_1
	v_fmac_f16_e32 v58, v39, v7
	v_fma_f16 v7, v49, v7, -v59
	v_mul_f16_sdwa v49, v52, v16 dst_sel:DWORD dst_unused:UNUSED_PAD src0_sel:DWORD src1_sel:WORD_1
	v_mul_f16_sdwa v59, v53, v17 dst_sel:DWORD dst_unused:UNUSED_PAD src0_sel:DWORD src1_sel:WORD_1
	v_fmac_f16_e32 v60, v25, v8
	v_fma_f16 v8, v41, v8, -v61
	v_mul_f16_sdwa v41, v55, v18 dst_sel:DWORD dst_unused:UNUSED_PAD src0_sel:DWORD src1_sel:WORD_1
	v_mul_f16_sdwa v37, v40, v9 dst_sel:DWORD dst_unused:UNUSED_PAD src0_sel:DWORD src1_sel:WORD_1
	;; [unrolled: 1-line block ×3, first 2 shown]
	v_fmac_f16_e32 v62, v40, v9
	v_mul_f16_sdwa v40, v44, v18 dst_sel:DWORD dst_unused:UNUSED_PAD src0_sel:DWORD src1_sel:WORD_1
	v_mul_f16_sdwa v39, v28, v15 dst_sel:DWORD dst_unused:UNUSED_PAD src0_sel:DWORD src1_sel:WORD_1
	;; [unrolled: 1-line block ×3, first 2 shown]
	v_fmac_f16_e32 v47, v28, v15
	v_fmac_f16_e32 v49, v43, v16
	;; [unrolled: 1-line block ×4, first 2 shown]
	v_fma_f16 v17, v53, v17, -v25
	v_fma_f16 v18, v55, v18, -v40
	v_add_f16_e32 v25, v20, v56
	v_add_f16_e32 v28, v56, v58
	v_fma_f16 v9, v42, v9, -v37
	v_add_f16_e32 v40, v60, v62
	v_fma_f16 v15, v36, v15, -v39
	v_fma_f16 v16, v52, v16, -v57
	v_sub_f16_e32 v29, v6, v7
	v_add_f16_e32 v36, v45, v6
	v_add_f16_e32 v6, v6, v7
	;; [unrolled: 1-line block ×3, first 2 shown]
	v_sub_f16_e32 v44, v60, v62
	v_add_f16_e32 v53, v47, v49
	v_add_f16_e32 v60, v59, v41
	v_sub_f16_e32 v37, v56, v58
	v_sub_f16_e32 v61, v17, v18
	v_add_f16_e32 v25, v25, v58
	v_add_f16_e32 v58, v54, v17
	v_add_f16_e32 v17, v17, v18
	v_fmac_f16_e32 v20, -0.5, v28
	v_sub_f16_e32 v42, v8, v9
	v_add_f16_e32 v43, v50, v8
	v_add_f16_e32 v8, v8, v9
	v_fmac_f16_e32 v22, -0.5, v40
	v_add_f16_e32 v52, v23, v47
	v_sub_f16_e32 v55, v15, v16
	v_add_f16_e32 v56, v51, v15
	v_add_f16_e32 v15, v15, v16
	;; [unrolled: 1-line block ×3, first 2 shown]
	v_fmac_f16_e32 v45, -0.5, v6
	v_fmac_f16_e32 v23, -0.5, v53
	;; [unrolled: 1-line block ×4, first 2 shown]
	v_fmamk_f16 v17, v29, 0xbaee, v20
	v_fmac_f16_e32 v20, 0x3aee, v29
	v_add_f16_e32 v6, v39, v62
	v_fmac_f16_e32 v50, -0.5, v8
	v_fmamk_f16 v29, v42, 0xbaee, v22
	v_sub_f16_e32 v47, v47, v49
	v_sub_f16_e32 v59, v59, v41
	v_add_f16_e32 v7, v36, v7
	v_add_f16_e32 v8, v52, v49
	v_fmac_f16_e32 v51, -0.5, v15
	v_add_f16_e32 v15, v57, v41
	v_fmamk_f16 v28, v37, 0x3aee, v45
	v_fmac_f16_e32 v45, 0xbaee, v37
	v_fmac_f16_e32 v22, 0x3aee, v42
	v_fmamk_f16 v37, v55, 0xbaee, v23
	v_fmac_f16_e32 v23, 0x3aee, v55
	v_fmamk_f16 v40, v61, 0xbaee, v38
	v_fmac_f16_e32 v38, 0x3aee, v61
	ds_write_b16 v21, v25
	ds_write_b16 v21, v17 offset:96
	ds_write_b16 v21, v20 offset:192
	ds_write_b16 v31, v6
	ds_write_b16 v31, v29 offset:96
	ds_write_b16 v31, v22 offset:192
	;; [unrolled: 3-line block ×4, first 2 shown]
	v_mul_lo_u16 v6, 0x90, v27
	v_add_f16_e32 v9, v43, v9
	v_fmamk_f16 v36, v44, 0x3aee, v50
	v_add_f16_e32 v16, v56, v16
	v_add_f16_e32 v18, v58, v18
	v_fmac_f16_e32 v50, 0xbaee, v44
	v_fmamk_f16 v39, v47, 0x3aee, v51
	v_fmac_f16_e32 v51, 0xbaee, v47
	v_fmamk_f16 v41, v59, 0x3aee, v54
	v_fmac_f16_e32 v54, 0xbaee, v59
	s_waitcnt lgkmcnt(0)
	s_barrier
	buffer_gl0_inv
	ds_read_u16 v25, v0
	ds_read_u16 v29, v0 offset:648
	ds_read_u16 v37, v0 offset:1296
	;; [unrolled: 1-line block ×11, first 2 shown]
	s_waitcnt lgkmcnt(0)
	s_barrier
	buffer_gl0_inv
	ds_write_b16 v21, v7
	ds_write_b16 v21, v28 offset:96
	ds_write_b16 v21, v45 offset:192
	ds_write_b16 v31, v9
	ds_write_b16 v31, v36 offset:96
	ds_write_b16 v31, v50 offset:192
	;; [unrolled: 3-line block ×4, first 2 shown]
	v_sub_nc_u16 v28, v11, v6
	s_waitcnt lgkmcnt(0)
	s_barrier
	buffer_gl0_inv
	s_clause 0x1
	global_load_dwordx2 v[15:16], v46, s[12:13] offset:512
	global_load_dwordx2 v[17:18], v48, s[12:13] offset:512
	v_lshlrev_b32_sdwa v7, v13, v34 dst_sel:DWORD dst_unused:UNUSED_PAD src0_sel:DWORD src1_sel:WORD_0
	v_lshlrev_b32_sdwa v6, v13, v28 dst_sel:DWORD dst_unused:UNUSED_PAD src0_sel:DWORD src1_sel:WORD_0
	v_add_nc_u32_e32 v8, 0xffffff94, v5
	v_mov_b32_e32 v23, 0x12f7
	v_lshrrev_b16 v35, 4, v10
	s_clause 0x1
	global_load_dwordx2 v[19:20], v7, s[12:13] offset:512
	global_load_dwordx2 v[21:22], v6, s[12:13] offset:512
	v_lshlrev_b32_e32 v6, 1, v5
	v_mov_b32_e32 v7, 0
	v_cndmask_b32_e64 v31, v8, v12, s0
	v_mul_u32_u24_e32 v27, 0x360, v27
	v_lshlrev_b32_sdwa v34, v14, v34 dst_sel:DWORD dst_unused:UNUSED_PAD src0_sel:DWORD src1_sel:WORD_0
	v_lshlrev_b32_sdwa v28, v14, v28 dst_sel:DWORD dst_unused:UNUSED_PAD src0_sel:DWORD src1_sel:WORD_0
	v_lshlrev_b64 v[8:9], 2, v[6:7]
	v_lshlrev_b32_e32 v6, 1, v31
	v_mul_u32_u24_sdwa v31, v35, v23 dst_sel:DWORD dst_unused:UNUSED_PAD src0_sel:WORD_0 src1_sel:DWORD
	v_mul_u32_u24_e32 v35, 0x360, v24
	ds_read_u16 v41, v0 offset:2592
	ds_read_u16 v45, v0 offset:5184
	v_add3_u32 v26, 0, v26, v34
	v_add3_u32 v27, 0, v27, v28
	;; [unrolled: 1-line block ×3, first 2 shown]
	ds_read_u16 v35, v0 offset:5832
	ds_read_u16 v32, v0 offset:3240
	;; [unrolled: 1-line block ×3, first 2 shown]
	ds_read_u16 v34, v0
	ds_read_u16 v46, v0 offset:648
	ds_read_u16 v48, v0 offset:1296
	;; [unrolled: 1-line block ×6, first 2 shown]
	v_lshrrev_b16 v36, 4, v11
	v_lshrrev_b32_e32 v31, 17, v31
	v_add_co_u32 v8, s0, s12, v8
	s_waitcnt vmcnt(0) lgkmcnt(0)
	v_mul_u32_u24_sdwa v23, v36, v23 dst_sel:DWORD dst_unused:UNUSED_PAD src0_sel:WORD_0 src1_sel:DWORD
	v_mul_lo_u16 v39, 0x1b0, v31
	s_barrier
	buffer_gl0_inv
	v_add_co_ci_u32_e64 v9, s0, s13, v9, s0
	v_lshrrev_b32_e32 v36, 17, v23
	v_lshlrev_b64 v[23:24], 2, v[6:7]
	v_sub_nc_u16 v39, v10, v39
	v_mul_lo_u16 v36, 0x1b0, v36
	v_add_co_u32 v23, s0, s12, v23
	v_add_co_ci_u32_e64 v24, s0, s13, v24, s0
	v_sub_nc_u16 v36, v11, v36
	v_lshlrev_b32_sdwa v13, v13, v39 dst_sel:DWORD dst_unused:UNUSED_PAD src0_sel:DWORD src1_sel:WORD_0
	v_cmp_lt_u32_e64 s0, 0x6b, v5
	v_lshlrev_b32_sdwa v14, v14, v39 dst_sel:DWORD dst_unused:UNUSED_PAD src0_sel:DWORD src1_sel:WORD_0
	v_mul_f16_sdwa v56, v41, v15 dst_sel:DWORD dst_unused:UNUSED_PAD src0_sel:DWORD src1_sel:WORD_1
	v_mul_f16_sdwa v57, v43, v15 dst_sel:DWORD dst_unused:UNUSED_PAD src0_sel:DWORD src1_sel:WORD_1
	;; [unrolled: 1-line block ×7, first 2 shown]
	v_fmac_f16_e32 v56, v43, v15
	v_mul_f16_sdwa v43, v49, v18 dst_sel:DWORD dst_unused:UNUSED_PAD src0_sel:DWORD src1_sel:WORD_1
	v_fma_f16 v15, v41, v15, -v57
	v_mul_f16_sdwa v41, v28, v19 dst_sel:DWORD dst_unused:UNUSED_PAD src0_sel:DWORD src1_sel:WORD_1
	v_fmac_f16_e32 v58, v47, v16
	v_mul_f16_sdwa v47, v40, v19 dst_sel:DWORD dst_unused:UNUSED_PAD src0_sel:DWORD src1_sel:WORD_1
	v_fma_f16 v16, v45, v16, -v59
	v_mul_f16_sdwa v45, v50, v20 dst_sel:DWORD dst_unused:UNUSED_PAD src0_sel:DWORD src1_sel:WORD_1
	v_mul_f16_sdwa v57, v52, v20 dst_sel:DWORD dst_unused:UNUSED_PAD src0_sel:DWORD src1_sel:WORD_1
	;; [unrolled: 1-line block ×3, first 2 shown]
	v_fmac_f16_e32 v60, v38, v17
	v_fma_f16 v17, v32, v17, -v61
	v_mul_f16_sdwa v32, v55, v22 dst_sel:DWORD dst_unused:UNUSED_PAD src0_sel:DWORD src1_sel:WORD_1
	v_mul_f16_sdwa v38, v42, v21 dst_sel:DWORD dst_unused:UNUSED_PAD src0_sel:DWORD src1_sel:WORD_1
	v_fmac_f16_e32 v62, v49, v18
	v_mul_f16_sdwa v49, v53, v22 dst_sel:DWORD dst_unused:UNUSED_PAD src0_sel:DWORD src1_sel:WORD_1
	v_fma_f16 v18, v35, v18, -v43
	v_fmac_f16_e32 v41, v40, v19
	v_fma_f16 v19, v28, v19, -v47
	v_fmac_f16_e32 v45, v52, v20
	;; [unrolled: 2-line block ×3, first 2 shown]
	v_fmac_f16_e32 v32, v53, v22
	v_fma_f16 v21, v51, v21, -v38
	v_fma_f16 v22, v55, v22, -v49
	v_add_f16_e32 v28, v25, v56
	v_add_f16_e32 v35, v56, v58
	v_sub_f16_e32 v38, v15, v16
	v_add_f16_e32 v40, v34, v15
	v_add_f16_e32 v15, v15, v16
	v_sub_f16_e32 v42, v56, v58
	;; [unrolled: 3-line block ×4, first 2 shown]
	v_add_f16_e32 v53, v41, v45
	v_sub_f16_e32 v55, v19, v20
	v_add_f16_e32 v56, v48, v19
	v_add_f16_e32 v19, v19, v20
	;; [unrolled: 1-line block ×3, first 2 shown]
	v_sub_f16_e32 v61, v21, v22
	v_add_f16_e32 v28, v28, v58
	v_add_f16_e32 v58, v54, v21
	;; [unrolled: 1-line block ×4, first 2 shown]
	v_fmac_f16_e32 v25, -0.5, v35
	v_fmac_f16_e32 v34, -0.5, v15
	v_add_f16_e32 v52, v37, v41
	v_sub_f16_e32 v41, v41, v45
	v_fmac_f16_e32 v29, -0.5, v47
	v_fmac_f16_e32 v46, -0.5, v17
	;; [unrolled: 1-line block ×5, first 2 shown]
	v_sub_f16_e32 v59, v59, v32
	v_add_f16_e32 v16, v40, v16
	v_fmac_f16_e32 v54, -0.5, v21
	v_add_f16_e32 v19, v57, v32
	v_fmamk_f16 v21, v38, 0xbaee, v25
	v_fmamk_f16 v32, v42, 0x3aee, v34
	v_fmac_f16_e32 v25, 0x3aee, v38
	v_fmac_f16_e32 v34, 0xbaee, v42
	v_add_f16_e32 v15, v43, v62
	v_add_f16_e32 v18, v50, v18
	v_fmamk_f16 v35, v49, 0xbaee, v29
	v_fmac_f16_e32 v29, 0x3aee, v49
	v_fmamk_f16 v38, v51, 0x3aee, v46
	v_fmamk_f16 v40, v55, 0xbaee, v37
	v_fmac_f16_e32 v37, 0x3aee, v55
	v_fmamk_f16 v42, v41, 0x3aee, v48
	v_fmac_f16_e32 v48, 0xbaee, v41
	;; [unrolled: 2-line block ×3, first 2 shown]
	v_add_f16_e32 v17, v52, v45
	v_add_f16_e32 v20, v56, v20
	;; [unrolled: 1-line block ×3, first 2 shown]
	v_fmac_f16_e32 v46, 0xbaee, v51
	v_fmamk_f16 v43, v59, 0x3aee, v54
	v_fmac_f16_e32 v54, 0xbaee, v59
	ds_write_b16 v30, v28
	ds_write_b16 v30, v21 offset:288
	ds_write_b16 v30, v25 offset:576
	ds_write_b16 v33, v15
	ds_write_b16 v33, v35 offset:288
	ds_write_b16 v33, v29 offset:576
	ds_write_b16 v26, v17
	ds_write_b16 v26, v40 offset:288
	ds_write_b16 v26, v37 offset:576
	ds_write_b16 v27, v19
	ds_write_b16 v27, v41 offset:288
	ds_write_b16 v27, v44 offset:576
	s_waitcnt lgkmcnt(0)
	s_barrier
	buffer_gl0_inv
	ds_read_u16 v25, v0
	ds_read_u16 v28, v0 offset:648
	ds_read_u16 v29, v0 offset:1296
	;; [unrolled: 1-line block ×11, first 2 shown]
	s_waitcnt lgkmcnt(0)
	s_barrier
	buffer_gl0_inv
	ds_write_b16 v30, v16
	ds_write_b16 v30, v32 offset:288
	ds_write_b16 v30, v34 offset:576
	ds_write_b16 v33, v18
	ds_write_b16 v33, v38 offset:288
	ds_write_b16 v33, v46 offset:576
	;; [unrolled: 3-line block ×4, first 2 shown]
	v_and_b32_e32 v26, 0xffff, v36
	s_waitcnt lgkmcnt(0)
	s_barrier
	buffer_gl0_inv
	s_clause 0x1
	global_load_dwordx2 v[15:16], v[8:9], off offset:1664
	global_load_dwordx2 v[17:18], v[23:24], off offset:1664
	v_lshlrev_b32_e32 v21, 3, v26
	s_clause 0x1
	global_load_dwordx2 v[19:20], v13, s[12:13] offset:1664
	global_load_dwordx2 v[21:22], v21, s[12:13] offset:1664
	v_cndmask_b32_e64 v13, 0, 0xa20, s0
	v_mul_u32_u24_e32 v23, 0xa20, v31
	ds_read_u16 v24, v0 offset:2592
	ds_read_u16 v27, v0 offset:5184
	;; [unrolled: 1-line block ×3, first 2 shown]
	v_lshl_add_u32 v26, v26, 1, 0
	v_add3_u32 v6, 0, v13, v6
	ds_read_u16 v13, v0 offset:5832
	v_add3_u32 v31, 0, v23, v14
	ds_read_u16 v14, v0 offset:3888
	ds_read_u16 v23, v0 offset:6480
	;; [unrolled: 1-line block ×4, first 2 shown]
	ds_read_u16 v34, v0
	ds_read_u16 v36, v0 offset:648
	ds_read_u16 v38, v0 offset:1296
	;; [unrolled: 1-line block ×3, first 2 shown]
	s_waitcnt vmcnt(0) lgkmcnt(0)
	s_barrier
	buffer_gl0_inv
	v_mul_f16_sdwa v42, v24, v15 dst_sel:DWORD dst_unused:UNUSED_PAD src0_sel:DWORD src1_sel:WORD_1
	v_mul_f16_sdwa v46, v27, v16 dst_sel:DWORD dst_unused:UNUSED_PAD src0_sel:DWORD src1_sel:WORD_1
	v_mul_f16_sdwa v51, v30, v17 dst_sel:DWORD dst_unused:UNUSED_PAD src0_sel:DWORD src1_sel:WORD_1
	v_mul_f16_sdwa v53, v13, v18 dst_sel:DWORD dst_unused:UNUSED_PAD src0_sel:DWORD src1_sel:WORD_1
	v_mul_f16_sdwa v43, v41, v15 dst_sel:DWORD dst_unused:UNUSED_PAD src0_sel:DWORD src1_sel:WORD_1
	v_mul_f16_sdwa v55, v14, v19 dst_sel:DWORD dst_unused:UNUSED_PAD src0_sel:DWORD src1_sel:WORD_1
	v_mul_f16_sdwa v57, v23, v20 dst_sel:DWORD dst_unused:UNUSED_PAD src0_sel:DWORD src1_sel:WORD_1
	v_mul_f16_sdwa v59, v32, v21 dst_sel:DWORD dst_unused:UNUSED_PAD src0_sel:DWORD src1_sel:WORD_1
	v_mul_f16_sdwa v61, v33, v22 dst_sel:DWORD dst_unused:UNUSED_PAD src0_sel:DWORD src1_sel:WORD_1
	v_mul_f16_sdwa v48, v45, v16 dst_sel:DWORD dst_unused:UNUSED_PAD src0_sel:DWORD src1_sel:WORD_1
	v_mul_f16_sdwa v54, v47, v18 dst_sel:DWORD dst_unused:UNUSED_PAD src0_sel:DWORD src1_sel:WORD_1
	v_mul_f16_sdwa v58, v49, v20 dst_sel:DWORD dst_unused:UNUSED_PAD src0_sel:DWORD src1_sel:WORD_1
	v_fmac_f16_e32 v42, v41, v15
	v_mul_f16_sdwa v41, v50, v22 dst_sel:DWORD dst_unused:UNUSED_PAD src0_sel:DWORD src1_sel:WORD_1
	v_fmac_f16_e32 v46, v45, v16
	v_mul_f16_sdwa v52, v35, v17 dst_sel:DWORD dst_unused:UNUSED_PAD src0_sel:DWORD src1_sel:WORD_1
	v_mul_f16_sdwa v56, v37, v19 dst_sel:DWORD dst_unused:UNUSED_PAD src0_sel:DWORD src1_sel:WORD_1
	;; [unrolled: 1-line block ×3, first 2 shown]
	v_fmac_f16_e32 v51, v35, v17
	v_fmac_f16_e32 v53, v47, v18
	;; [unrolled: 1-line block ×6, first 2 shown]
	v_fma_f16 v15, v24, v15, -v43
	v_fma_f16 v16, v27, v16, -v48
	;; [unrolled: 1-line block ×5, first 2 shown]
	v_add_f16_e32 v22, v42, v46
	v_fma_f16 v17, v30, v17, -v52
	v_fma_f16 v14, v14, v19, -v56
	;; [unrolled: 1-line block ×3, first 2 shown]
	v_add_f16_e32 v32, v51, v53
	v_add_f16_e32 v41, v55, v57
	v_add_f16_e32 v48, v59, v61
	v_add_f16_e32 v21, v25, v42
	v_sub_f16_e32 v23, v15, v16
	v_add_f16_e32 v24, v34, v15
	v_fmac_f16_e32 v25, -0.5, v22
	v_add_f16_e32 v15, v15, v16
	v_add_f16_e32 v30, v28, v51
	v_sub_f16_e32 v27, v42, v46
	v_sub_f16_e32 v33, v17, v13
	v_add_f16_e32 v35, v36, v17
	v_add_f16_e32 v17, v17, v13
	;; [unrolled: 1-line block ×3, first 2 shown]
	v_sub_f16_e32 v42, v14, v18
	v_add_f16_e32 v43, v38, v14
	v_add_f16_e32 v14, v14, v18
	v_add_f16_e32 v47, v44, v59
	v_sub_f16_e32 v49, v19, v20
	v_add_f16_e32 v50, v39, v19
	v_add_f16_e32 v19, v19, v20
	v_fmac_f16_e32 v28, -0.5, v32
	v_fmac_f16_e32 v29, -0.5, v41
	;; [unrolled: 1-line block ×3, first 2 shown]
	v_add_f16_e32 v21, v21, v46
	v_add_f16_e32 v46, v24, v16
	v_fmamk_f16 v16, v23, 0xbaee, v25
	v_fmac_f16_e32 v25, 0x3aee, v23
	v_fmac_f16_e32 v34, -0.5, v15
	v_add_f16_e32 v15, v30, v53
	v_add_f16_e32 v30, v35, v13
	v_fmac_f16_e32 v36, -0.5, v17
	v_add_f16_e32 v13, v40, v57
	v_add_f16_e32 v32, v43, v18
	v_fmac_f16_e32 v38, -0.5, v14
	v_add_f16_e32 v14, v47, v61
	v_fmac_f16_e32 v39, -0.5, v19
	v_fmamk_f16 v17, v33, 0xbaee, v28
	v_fmamk_f16 v18, v42, 0xbaee, v29
	;; [unrolled: 1-line block ×3, first 2 shown]
	v_add_f16_e32 v35, v50, v20
	v_fmac_f16_e32 v28, 0x3aee, v33
	v_fmac_f16_e32 v29, 0x3aee, v42
	;; [unrolled: 1-line block ×3, first 2 shown]
	ds_write_b16 v0, v21
	ds_write_b16 v0, v16 offset:864
	ds_write_b16 v0, v25 offset:1728
	ds_write_b16 v6, v15
	ds_write_b16 v6, v17 offset:864
	ds_write_b16 v6, v28 offset:1728
	ds_write_b16 v31, v13
	ds_write_b16 v31, v18 offset:864
	ds_write_b16 v31, v29 offset:1728
	ds_write_b16 v26, v14 offset:5184
	ds_write_b16 v26, v19 offset:6048
	;; [unrolled: 1-line block ×3, first 2 shown]
	s_waitcnt lgkmcnt(0)
	s_barrier
	buffer_gl0_inv
	ds_read_u16 v13, v0
	ds_read_u16 v14, v0 offset:648
	ds_read_u16 v15, v0 offset:1296
	;; [unrolled: 1-line block ×11, first 2 shown]
	v_sub_f16_e32 v37, v51, v53
	v_sub_f16_e32 v45, v55, v57
	;; [unrolled: 1-line block ×3, first 2 shown]
	v_fmamk_f16 v40, v27, 0x3aee, v34
	v_fmac_f16_e32 v34, 0xbaee, v27
	v_fmamk_f16 v27, v37, 0x3aee, v36
	v_fmac_f16_e32 v36, 0xbaee, v37
	;; [unrolled: 2-line block ×4, first 2 shown]
	s_waitcnt lgkmcnt(0)
	s_barrier
	buffer_gl0_inv
	ds_write_b16 v0, v46
	ds_write_b16 v0, v40 offset:864
	ds_write_b16 v0, v34 offset:1728
	ds_write_b16 v6, v30
	ds_write_b16 v6, v27 offset:864
	ds_write_b16 v6, v36 offset:1728
	;; [unrolled: 3-line block ×3, first 2 shown]
	ds_write_b16 v26, v35 offset:5184
	ds_write_b16 v26, v37 offset:6048
	;; [unrolled: 1-line block ×3, first 2 shown]
	s_waitcnt lgkmcnt(0)
	s_barrier
	buffer_gl0_inv
	s_and_saveexec_b32 s0, vcc_lo
	s_cbranch_execz .LBB0_17
; %bb.16:
	v_lshlrev_b32_e32 v6, 1, v11
	v_mul_lo_u32 v31, s2, v4
	v_mul_hi_u32 v32, 0xca4587e7, v10
	v_mul_hi_u32 v33, 0xca4587e7, v11
	v_lshlrev_b64 v[25:26], 2, v[6:7]
	v_lshlrev_b32_e32 v6, 1, v10
	v_lshrrev_b32_e32 v34, 10, v32
	v_add_co_u32 v25, vcc_lo, s12, v25
	v_add_co_ci_u32_e32 v26, vcc_lo, s13, v26, vcc_lo
	v_lshlrev_b64 v[27:28], 2, v[6:7]
	v_add_co_u32 v25, vcc_lo, 0x1000, v25
	v_lshlrev_b32_e32 v6, 1, v12
	v_add_co_ci_u32_e32 v26, vcc_lo, 0, v26, vcc_lo
	v_add_co_u32 v27, vcc_lo, s12, v27
	v_add_co_ci_u32_e32 v28, vcc_lo, s13, v28, vcc_lo
	v_lshlrev_b64 v[29:30], 2, v[6:7]
	v_add_co_u32 v27, vcc_lo, 0x1000, v27
	v_add_co_ci_u32_e32 v28, vcc_lo, 0, v28, vcc_lo
	global_load_dwordx2 v[25:26], v[25:26], off offset:1024
	v_add_co_u32 v6, vcc_lo, s12, v29
	global_load_dwordx2 v[27:28], v[27:28], off offset:1024
	v_add_co_ci_u32_e32 v12, vcc_lo, s13, v30, vcc_lo
	v_add_co_u32 v29, vcc_lo, 0x1000, v6
	v_mov_b32_e32 v6, v7
	v_add_co_ci_u32_e32 v30, vcc_lo, 0, v12, vcc_lo
	v_add_co_u32 v8, vcc_lo, 0x1000, v8
	v_add_co_ci_u32_e32 v9, vcc_lo, 0, v9, vcc_lo
	s_clause 0x1
	global_load_dwordx2 v[29:30], v[29:30], off offset:1024
	global_load_dwordx2 v[8:9], v[8:9], off offset:1024
	v_mul_lo_u32 v12, s3, v3
	v_mad_u64_u32 v[3:4], null, s2, v3, 0
	ds_read_u16 v41, v0 offset:4536
	ds_read_u16 v42, v0 offset:3888
	;; [unrolled: 1-line block ×7, first 2 shown]
	ds_read_u16 v48, v0
	v_add3_u32 v4, v4, v31, v12
	ds_read_u16 v12, v0 offset:7128
	ds_read_u16 v49, v0 offset:6480
	;; [unrolled: 1-line block ×4, first 2 shown]
	v_lshlrev_b64 v[0:1], 2, v[1:2]
	v_lshlrev_b64 v[31:32], 2, v[5:6]
	v_lshrrev_b32_e32 v5, 10, v33
	v_lshlrev_b64 v[3:4], 2, v[3:4]
	v_mad_u32_u24 v6, 0xa20, v34, v10
	v_add_co_u32 v10, vcc_lo, s10, v3
	v_add_co_ci_u32_e32 v4, vcc_lo, s11, v4, vcc_lo
	v_lshlrev_b64 v[2:3], 2, v[6:7]
	v_mad_u32_u24 v6, 0xa20, v5, v11
	v_add_co_u32 v10, vcc_lo, v10, v0
	v_add_co_ci_u32_e32 v11, vcc_lo, v4, v1, vcc_lo
	v_lshlrev_b64 v[0:1], 2, v[6:7]
	v_add_co_u32 v4, vcc_lo, v10, v31
	v_add_co_ci_u32_e32 v5, vcc_lo, v11, v32, vcc_lo
	v_add_co_u32 v2, vcc_lo, v10, v2
	v_add_co_ci_u32_e32 v3, vcc_lo, v11, v3, vcc_lo
	;; [unrolled: 2-line block ×10, first 2 shown]
	s_waitcnt vmcnt(3)
	v_mul_f16_sdwa v52, v23, v25 dst_sel:DWORD dst_unused:UNUSED_PAD src0_sel:DWORD src1_sel:WORD_1
	v_mul_f16_sdwa v53, v24, v26 dst_sel:DWORD dst_unused:UNUSED_PAD src0_sel:DWORD src1_sel:WORD_1
	s_waitcnt lgkmcnt(11)
	v_mul_f16_sdwa v54, v41, v25 dst_sel:DWORD dst_unused:UNUSED_PAD src0_sel:DWORD src1_sel:WORD_1
	s_waitcnt lgkmcnt(3)
	v_mul_f16_sdwa v55, v12, v26 dst_sel:DWORD dst_unused:UNUSED_PAD src0_sel:DWORD src1_sel:WORD_1
	v_fma_f16 v41, v25, v41, -v52
	v_fma_f16 v12, v26, v12, -v53
	v_fmac_f16_e32 v54, v23, v25
	v_fmac_f16_e32 v55, v24, v26
	s_waitcnt vmcnt(2)
	v_mul_f16_sdwa v23, v21, v27 dst_sel:DWORD dst_unused:UNUSED_PAD src0_sel:DWORD src1_sel:WORD_1
	v_mul_f16_sdwa v24, v22, v28 dst_sel:DWORD dst_unused:UNUSED_PAD src0_sel:DWORD src1_sel:WORD_1
	v_mul_f16_sdwa v25, v42, v27 dst_sel:DWORD dst_unused:UNUSED_PAD src0_sel:DWORD src1_sel:WORD_1
	s_waitcnt lgkmcnt(2)
	v_mul_f16_sdwa v26, v49, v28 dst_sel:DWORD dst_unused:UNUSED_PAD src0_sel:DWORD src1_sel:WORD_1
	v_add_f16_e32 v52, v41, v12
	v_sub_f16_e32 v53, v54, v55
	v_add_f16_e32 v56, v54, v55
	v_sub_f16_e32 v57, v41, v12
	v_add_f16_e32 v41, v45, v41
	v_add_f16_e32 v54, v20, v54
	v_fma_f16 v23, v27, v42, -v23
	v_fma_f16 v24, v28, v49, -v24
	v_fmac_f16_e32 v25, v21, v27
	v_fmac_f16_e32 v26, v22, v28
	s_waitcnt vmcnt(1)
	v_mul_f16_sdwa v21, v16, v29 dst_sel:DWORD dst_unused:UNUSED_PAD src0_sel:DWORD src1_sel:WORD_1
	v_mul_f16_sdwa v22, v19, v30 dst_sel:DWORD dst_unused:UNUSED_PAD src0_sel:DWORD src1_sel:WORD_1
	;; [unrolled: 1-line block ×3, first 2 shown]
	s_waitcnt lgkmcnt(1)
	v_mul_f16_sdwa v28, v50, v30 dst_sel:DWORD dst_unused:UNUSED_PAD src0_sel:DWORD src1_sel:WORD_1
	s_waitcnt vmcnt(0)
	v_mul_f16_sdwa v42, v17, v8 dst_sel:DWORD dst_unused:UNUSED_PAD src0_sel:DWORD src1_sel:WORD_1
	v_mul_f16_sdwa v49, v18, v9 dst_sel:DWORD dst_unused:UNUSED_PAD src0_sel:DWORD src1_sel:WORD_1
	;; [unrolled: 1-line block ×3, first 2 shown]
	s_waitcnt lgkmcnt(0)
	v_mul_f16_sdwa v59, v51, v9 dst_sel:DWORD dst_unused:UNUSED_PAD src0_sel:DWORD src1_sel:WORD_1
	v_fma_f16 v45, -0.5, v52, v45
	v_fma_f16 v20, -0.5, v56, v20
	v_add_f16_e32 v12, v41, v12
	v_add_f16_e32 v41, v54, v55
	v_add_f16_e32 v52, v23, v24
	v_sub_f16_e32 v54, v25, v26
	v_add_f16_e32 v55, v25, v26
	v_sub_f16_e32 v56, v23, v24
	v_add_f16_e32 v23, v46, v23
	v_add_f16_e32 v25, v15, v25
	v_fma_f16 v21, v29, v43, -v21
	v_fma_f16 v22, v30, v50, -v22
	v_fmac_f16_e32 v27, v16, v29
	v_fmac_f16_e32 v28, v19, v30
	v_fma_f16 v16, v8, v44, -v42
	v_fma_f16 v19, v9, v51, -v49
	v_fmac_f16_e32 v58, v17, v8
	v_fmac_f16_e32 v59, v18, v9
	v_add_f16_e32 v18, v23, v24
	v_add_f16_e32 v23, v25, v26
	;; [unrolled: 1-line block ×6, first 2 shown]
	v_fma_f16 v17, -0.5, v52, v46
	v_sub_f16_e32 v44, v16, v19
	v_add_f16_e32 v16, v48, v16
	v_add_f16_e32 v46, v13, v58
	v_sub_f16_e32 v25, v27, v28
	v_sub_f16_e32 v29, v21, v22
	v_add_f16_e32 v21, v47, v21
	v_add_f16_e32 v27, v14, v27
	v_fmamk_f16 v8, v53, 0xbaee, v45
	v_fmamk_f16 v9, v57, 0x3aee, v20
	v_sub_f16_e32 v42, v58, v59
	v_fma_f16 v24, -0.5, v24, v47
	v_fma_f16 v14, -0.5, v26, v14
	;; [unrolled: 1-line block ×4, first 2 shown]
	v_add_f16_e32 v16, v16, v19
	v_add_f16_e32 v19, v46, v59
	v_fma_f16 v15, -0.5, v55, v15
	v_add_f16_e32 v21, v21, v22
	v_add_f16_e32 v22, v27, v28
	v_pack_b32_f16 v8, v9, v8
	v_fmamk_f16 v9, v25, 0xbaee, v24
	v_fmac_f16_e32 v24, 0x3aee, v25
	v_fmamk_f16 v25, v42, 0xbaee, v26
	v_fmamk_f16 v27, v44, 0x3aee, v13
	v_fmac_f16_e32 v26, 0x3aee, v42
	v_fmac_f16_e32 v13, 0xbaee, v44
	v_pack_b32_f16 v16, v19, v16
	v_pack_b32_f16 v18, v23, v18
	v_fmamk_f16 v23, v29, 0x3aee, v14
	v_fmac_f16_e32 v14, 0xbaee, v29
	v_fmac_f16_e32 v45, 0x3aee, v53
	;; [unrolled: 1-line block ×3, first 2 shown]
	v_pack_b32_f16 v12, v41, v12
	v_fmamk_f16 v41, v54, 0xbaee, v17
	v_fmamk_f16 v49, v56, 0x3aee, v15
	v_fmac_f16_e32 v17, 0x3aee, v54
	v_fmac_f16_e32 v15, 0xbaee, v56
	v_pack_b32_f16 v19, v22, v21
	v_pack_b32_f16 v13, v13, v26
	global_store_dword v[4:5], v16, off
	v_pack_b32_f16 v16, v27, v25
	v_pack_b32_f16 v14, v14, v24
	;; [unrolled: 1-line block ×6, first 2 shown]
	global_store_dword v[4:5], v19, off offset:1296
	global_store_dword v[6:7], v13, off offset:1088
	;; [unrolled: 1-line block ×5, first 2 shown]
	global_store_dword v[2:3], v18, off
	global_store_dword v[33:34], v15, off offset:1088
	global_store_dword v[35:36], v17, off offset:128
	global_store_dword v[0:1], v12, off
	global_store_dword v[37:38], v20, off offset:1088
	global_store_dword v[39:40], v8, off offset:128
.LBB0_17:
	s_endpgm
	.section	.rodata,"a",@progbits
	.p2align	6, 0x0
	.amdhsa_kernel fft_rtc_back_len3888_factors_16_3_3_3_3_3_wgs_324_tpt_324_halfLds_half_op_CI_CI_unitstride_sbrr_dirReg
		.amdhsa_group_segment_fixed_size 0
		.amdhsa_private_segment_fixed_size 0
		.amdhsa_kernarg_size 104
		.amdhsa_user_sgpr_count 6
		.amdhsa_user_sgpr_private_segment_buffer 1
		.amdhsa_user_sgpr_dispatch_ptr 0
		.amdhsa_user_sgpr_queue_ptr 0
		.amdhsa_user_sgpr_kernarg_segment_ptr 1
		.amdhsa_user_sgpr_dispatch_id 0
		.amdhsa_user_sgpr_flat_scratch_init 0
		.amdhsa_user_sgpr_private_segment_size 0
		.amdhsa_wavefront_size32 1
		.amdhsa_uses_dynamic_stack 0
		.amdhsa_system_sgpr_private_segment_wavefront_offset 0
		.amdhsa_system_sgpr_workgroup_id_x 1
		.amdhsa_system_sgpr_workgroup_id_y 0
		.amdhsa_system_sgpr_workgroup_id_z 0
		.amdhsa_system_sgpr_workgroup_info 0
		.amdhsa_system_vgpr_workitem_id 0
		.amdhsa_next_free_vgpr 63
		.amdhsa_next_free_sgpr 27
		.amdhsa_reserve_vcc 1
		.amdhsa_reserve_flat_scratch 0
		.amdhsa_float_round_mode_32 0
		.amdhsa_float_round_mode_16_64 0
		.amdhsa_float_denorm_mode_32 3
		.amdhsa_float_denorm_mode_16_64 3
		.amdhsa_dx10_clamp 1
		.amdhsa_ieee_mode 1
		.amdhsa_fp16_overflow 0
		.amdhsa_workgroup_processor_mode 1
		.amdhsa_memory_ordered 1
		.amdhsa_forward_progress 0
		.amdhsa_shared_vgpr_count 0
		.amdhsa_exception_fp_ieee_invalid_op 0
		.amdhsa_exception_fp_denorm_src 0
		.amdhsa_exception_fp_ieee_div_zero 0
		.amdhsa_exception_fp_ieee_overflow 0
		.amdhsa_exception_fp_ieee_underflow 0
		.amdhsa_exception_fp_ieee_inexact 0
		.amdhsa_exception_int_div_zero 0
	.end_amdhsa_kernel
	.text
.Lfunc_end0:
	.size	fft_rtc_back_len3888_factors_16_3_3_3_3_3_wgs_324_tpt_324_halfLds_half_op_CI_CI_unitstride_sbrr_dirReg, .Lfunc_end0-fft_rtc_back_len3888_factors_16_3_3_3_3_3_wgs_324_tpt_324_halfLds_half_op_CI_CI_unitstride_sbrr_dirReg
                                        ; -- End function
	.section	.AMDGPU.csdata,"",@progbits
; Kernel info:
; codeLenInByte = 9448
; NumSgprs: 29
; NumVgprs: 63
; ScratchSize: 0
; MemoryBound: 0
; FloatMode: 240
; IeeeMode: 1
; LDSByteSize: 0 bytes/workgroup (compile time only)
; SGPRBlocks: 3
; VGPRBlocks: 7
; NumSGPRsForWavesPerEU: 29
; NumVGPRsForWavesPerEU: 63
; Occupancy: 14
; WaveLimiterHint : 1
; COMPUTE_PGM_RSRC2:SCRATCH_EN: 0
; COMPUTE_PGM_RSRC2:USER_SGPR: 6
; COMPUTE_PGM_RSRC2:TRAP_HANDLER: 0
; COMPUTE_PGM_RSRC2:TGID_X_EN: 1
; COMPUTE_PGM_RSRC2:TGID_Y_EN: 0
; COMPUTE_PGM_RSRC2:TGID_Z_EN: 0
; COMPUTE_PGM_RSRC2:TIDIG_COMP_CNT: 0
	.text
	.p2alignl 6, 3214868480
	.fill 48, 4, 3214868480
	.type	__hip_cuid_a529fab3cb49cf93,@object ; @__hip_cuid_a529fab3cb49cf93
	.section	.bss,"aw",@nobits
	.globl	__hip_cuid_a529fab3cb49cf93
__hip_cuid_a529fab3cb49cf93:
	.byte	0                               ; 0x0
	.size	__hip_cuid_a529fab3cb49cf93, 1

	.ident	"AMD clang version 19.0.0git (https://github.com/RadeonOpenCompute/llvm-project roc-6.4.0 25133 c7fe45cf4b819c5991fe208aaa96edf142730f1d)"
	.section	".note.GNU-stack","",@progbits
	.addrsig
	.addrsig_sym __hip_cuid_a529fab3cb49cf93
	.amdgpu_metadata
---
amdhsa.kernels:
  - .args:
      - .actual_access:  read_only
        .address_space:  global
        .offset:         0
        .size:           8
        .value_kind:     global_buffer
      - .offset:         8
        .size:           8
        .value_kind:     by_value
      - .actual_access:  read_only
        .address_space:  global
        .offset:         16
        .size:           8
        .value_kind:     global_buffer
      - .actual_access:  read_only
        .address_space:  global
        .offset:         24
        .size:           8
        .value_kind:     global_buffer
      - .actual_access:  read_only
        .address_space:  global
        .offset:         32
        .size:           8
        .value_kind:     global_buffer
      - .offset:         40
        .size:           8
        .value_kind:     by_value
      - .actual_access:  read_only
        .address_space:  global
        .offset:         48
        .size:           8
        .value_kind:     global_buffer
      - .actual_access:  read_only
        .address_space:  global
        .offset:         56
        .size:           8
        .value_kind:     global_buffer
      - .offset:         64
        .size:           4
        .value_kind:     by_value
      - .actual_access:  read_only
        .address_space:  global
        .offset:         72
        .size:           8
        .value_kind:     global_buffer
      - .actual_access:  read_only
        .address_space:  global
        .offset:         80
        .size:           8
        .value_kind:     global_buffer
      - .actual_access:  read_only
        .address_space:  global
        .offset:         88
        .size:           8
        .value_kind:     global_buffer
      - .actual_access:  write_only
        .address_space:  global
        .offset:         96
        .size:           8
        .value_kind:     global_buffer
    .group_segment_fixed_size: 0
    .kernarg_segment_align: 8
    .kernarg_segment_size: 104
    .language:       OpenCL C
    .language_version:
      - 2
      - 0
    .max_flat_workgroup_size: 324
    .name:           fft_rtc_back_len3888_factors_16_3_3_3_3_3_wgs_324_tpt_324_halfLds_half_op_CI_CI_unitstride_sbrr_dirReg
    .private_segment_fixed_size: 0
    .sgpr_count:     29
    .sgpr_spill_count: 0
    .symbol:         fft_rtc_back_len3888_factors_16_3_3_3_3_3_wgs_324_tpt_324_halfLds_half_op_CI_CI_unitstride_sbrr_dirReg.kd
    .uniform_work_group_size: 1
    .uses_dynamic_stack: false
    .vgpr_count:     63
    .vgpr_spill_count: 0
    .wavefront_size: 32
    .workgroup_processor_mode: 1
amdhsa.target:   amdgcn-amd-amdhsa--gfx1030
amdhsa.version:
  - 1
  - 2
...

	.end_amdgpu_metadata
